;; amdgpu-corpus repo=ROCm/rocFFT kind=compiled arch=gfx906 opt=O3
	.text
	.amdgcn_target "amdgcn-amd-amdhsa--gfx906"
	.amdhsa_code_object_version 6
	.protected	bluestein_single_back_len14_dim1_sp_op_CI_CI ; -- Begin function bluestein_single_back_len14_dim1_sp_op_CI_CI
	.globl	bluestein_single_back_len14_dim1_sp_op_CI_CI
	.p2align	8
	.type	bluestein_single_back_len14_dim1_sp_op_CI_CI,@function
bluestein_single_back_len14_dim1_sp_op_CI_CI: ; @bluestein_single_back_len14_dim1_sp_op_CI_CI
; %bb.0:
	v_mul_u32_u24_e32 v1, 0x2493, v0
	s_load_dwordx4 s[0:3], s[4:5], 0x28
	v_lshrrev_b32_e32 v1, 16, v1
	v_mad_u64_u32 v[12:13], s[6:7], s6, 18, v[1:2]
	v_mov_b32_e32 v13, 0
	s_waitcnt lgkmcnt(0)
	v_cmp_gt_u64_e32 vcc, s[0:1], v[12:13]
	s_and_saveexec_b64 s[0:1], vcc
	s_cbranch_execz .LBB0_15
; %bb.1:
	s_mov_b32 s0, 0x38e38e39
	v_mul_hi_u32 v2, v12, s0
	s_load_dwordx2 s[12:13], s[4:5], 0x0
	s_load_dwordx2 s[6:7], s[4:5], 0x38
	v_mul_lo_u16_e32 v1, 7, v1
	v_sub_u16_e32 v21, v0, v1
	v_lshrrev_b32_e32 v2, 2, v2
	v_mul_lo_u32 v2, v2, 18
	v_cmp_gt_u16_e32 vcc, 2, v21
	v_lshlrev_b32_e32 v24, 3, v21
	v_or_b32_e32 v22, 2, v21
	v_sub_u32_e32 v0, v12, v2
	v_mul_u32_u24_e32 v25, 14, v0
	v_or_b32_e32 v0, v25, v21
	v_lshlrev_b32_e32 v26, 3, v0
	v_or_b32_e32 v23, 4, v21
	v_or_b32_e32 v20, 6, v21
	;; [unrolled: 1-line block ×5, first 2 shown]
	s_and_saveexec_b64 s[14:15], vcc
	s_cbranch_execz .LBB0_3
; %bb.2:
	s_load_dwordx2 s[0:1], s[4:5], 0x18
	v_mov_b32_e32 v8, s3
	s_waitcnt lgkmcnt(0)
	s_load_dwordx4 s[8:11], s[0:1], 0x0
	s_waitcnt lgkmcnt(0)
	v_mad_u64_u32 v[0:1], s[0:1], s10, v12, 0
	v_mad_u64_u32 v[2:3], s[0:1], s8, v21, 0
	;; [unrolled: 1-line block ×5, first 2 shown]
	v_mov_b32_e32 v1, v4
	v_lshlrev_b64 v[0:1], 3, v[0:1]
	v_mov_b32_e32 v3, v5
	v_add_co_u32_e64 v40, s[0:1], s2, v0
	v_mov_b32_e32 v0, v7
	v_addc_co_u32_e64 v41, s[0:1], v8, v1, s[0:1]
	v_mad_u64_u32 v[0:1], s[0:1], s9, v22, v[0:1]
	v_mad_u64_u32 v[4:5], s[0:1], s8, v23, 0
	v_lshlrev_b64 v[2:3], 3, v[2:3]
	v_mov_b32_e32 v7, v0
	v_add_co_u32_e64 v1, s[0:1], v40, v2
	v_mov_b32_e32 v0, v5
	v_addc_co_u32_e64 v2, s[0:1], v41, v3, s[0:1]
	v_mad_u64_u32 v[8:9], s[0:1], s9, v23, v[0:1]
	v_mad_u64_u32 v[9:10], s[0:1], s8, v20, 0
	v_lshlrev_b64 v[6:7], 3, v[6:7]
	v_mov_b32_e32 v5, v8
	v_add_co_u32_e64 v6, s[0:1], v40, v6
	v_mov_b32_e32 v0, v10
	v_addc_co_u32_e64 v7, s[0:1], v41, v7, s[0:1]
	v_mad_u64_u32 v[10:11], s[0:1], s9, v20, v[0:1]
	v_lshlrev_b64 v[3:4], 3, v[4:5]
	v_add_co_u32_e64 v3, s[0:1], v40, v3
	v_lshlrev_b64 v[8:9], 3, v[9:10]
	v_addc_co_u32_e64 v4, s[0:1], v41, v4, s[0:1]
	v_add_co_u32_e64 v8, s[0:1], v40, v8
	v_addc_co_u32_e64 v9, s[0:1], v41, v9, s[0:1]
	v_mad_u64_u32 v[10:11], s[0:1], s8, v19, 0
	global_load_dwordx2 v[13:14], v[1:2], off
	global_load_dwordx2 v[15:16], v[6:7], off
	;; [unrolled: 1-line block ×4, first 2 shown]
	v_mad_u64_u32 v[0:1], s[0:1], s8, v18, 0
	v_mov_b32_e32 v2, v11
	v_mad_u64_u32 v[2:3], s[0:1], s9, v19, v[2:3]
	v_mad_u64_u32 v[3:4], s[0:1], s9, v18, v[1:2]
	v_mov_b32_e32 v11, v2
	global_load_dwordx2 v[4:5], v24, s[12:13]
	global_load_dwordx2 v[6:7], v24, s[12:13] offset:16
	global_load_dwordx2 v[8:9], v24, s[12:13] offset:32
	;; [unrolled: 1-line block ×3, first 2 shown]
	v_mov_b32_e32 v1, v3
	v_lshlrev_b64 v[2:3], 3, v[10:11]
	v_lshlrev_b64 v[0:1], 3, v[0:1]
	v_add_co_u32_e64 v2, s[0:1], v40, v2
	v_addc_co_u32_e64 v3, s[0:1], v41, v3, s[0:1]
	v_mad_u64_u32 v[10:11], s[0:1], s8, v17, 0
	v_add_co_u32_e64 v0, s[0:1], v40, v0
	v_addc_co_u32_e64 v1, s[0:1], v41, v1, s[0:1]
	v_mad_u64_u32 v[33:34], s[0:1], s9, v17, v[11:12]
	global_load_dwordx2 v[34:35], v[2:3], off
	global_load_dwordx2 v[36:37], v[0:1], off
	global_load_dwordx2 v[38:39], v24, s[12:13] offset:64
	v_mov_b32_e32 v11, v33
	v_lshlrev_b64 v[2:3], 3, v[10:11]
	global_load_dwordx2 v[0:1], v24, s[12:13] offset:80
	v_add_co_u32_e64 v2, s[0:1], v40, v2
	v_addc_co_u32_e64 v3, s[0:1], v41, v3, s[0:1]
	global_load_dwordx2 v[10:11], v[2:3], off
	global_load_dwordx2 v[40:41], v24, s[12:13] offset:96
	s_waitcnt vmcnt(9)
	v_mul_f32_e32 v2, v13, v5
	v_fma_f32 v3, v14, v4, -v2
	v_mul_f32_e32 v2, v14, v5
	v_fmac_f32_e32 v2, v13, v4
	s_waitcnt vmcnt(8)
	v_mul_f32_e32 v4, v15, v7
	v_fma_f32 v5, v16, v6, -v4
	v_mul_f32_e32 v4, v16, v7
	v_fmac_f32_e32 v4, v15, v6
	;; [unrolled: 5-line block ×3, first 2 shown]
	s_waitcnt vmcnt(6)
	v_mul_f32_e32 v8, v29, v32
	v_lshl_add_u32 v13, v25, 3, v24
	ds_write_b64 v26, v[2:3]
	ds_write2_b64 v13, v[4:5], v[6:7] offset0:2 offset1:4
	v_fma_f32 v9, v30, v31, -v8
	v_mul_f32_e32 v8, v30, v32
	v_fmac_f32_e32 v8, v29, v31
	s_waitcnt vmcnt(3)
	v_mul_f32_e32 v2, v34, v39
	v_fma_f32 v3, v35, v38, -v2
	v_mul_f32_e32 v2, v35, v39
	v_fmac_f32_e32 v2, v34, v38
	ds_write2_b64 v13, v[8:9], v[2:3] offset0:6 offset1:8
	s_waitcnt vmcnt(2)
	v_mul_f32_e32 v2, v37, v1
	v_mul_f32_e32 v1, v36, v1
	v_fmac_f32_e32 v2, v36, v0
	v_fma_f32 v3, v37, v0, -v1
	s_waitcnt vmcnt(0)
	v_mul_f32_e32 v0, v11, v41
	v_mul_f32_e32 v1, v10, v41
	v_fmac_f32_e32 v0, v10, v40
	v_fma_f32 v1, v11, v40, -v1
	ds_write2_b64 v13, v[2:3], v[0:1] offset0:10 offset1:12
.LBB0_3:
	s_or_b64 exec, exec, s[14:15]
	s_load_dwordx2 s[0:1], s[4:5], 0x20
	s_load_dwordx2 s[8:9], s[4:5], 0x8
	v_mov_b32_e32 v0, 0
	v_mov_b32_e32 v1, 0
	;; [unrolled: 1-line block ×5, first 2 shown]
	v_lshlrev_b32_e32 v27, 3, v25
	v_mov_b32_e32 v2, v0
	v_mov_b32_e32 v6, v0
	;; [unrolled: 1-line block ×3, first 2 shown]
	s_waitcnt lgkmcnt(0)
	s_barrier
	s_waitcnt lgkmcnt(0)
                                        ; implicit-def: $vgpr11
	s_and_saveexec_b64 s[2:3], vcc
	s_cbranch_execz .LBB0_5
; %bb.4:
	v_lshl_add_u32 v8, v21, 3, v27
	ds_read_b64 v[13:14], v26
	ds_read2_b64 v[0:3], v8 offset0:2 offset1:4
	ds_read2_b64 v[4:7], v8 offset0:6 offset1:8
	;; [unrolled: 1-line block ×3, first 2 shown]
.LBB0_5:
	s_or_b64 exec, exec, s[2:3]
	s_waitcnt lgkmcnt(0)
	v_add_f32_e32 v15, v10, v0
	v_sub_f32_e32 v0, v0, v10
	v_add_f32_e32 v10, v8, v2
	v_add_f32_e32 v16, v11, v1
	v_sub_f32_e32 v1, v1, v11
	v_add_f32_e32 v11, v9, v3
	v_sub_f32_e32 v2, v2, v8
	;; [unrolled: 2-line block ×5, first 2 shown]
	v_add_f32_e32 v7, v16, v11
	v_add_f32_e32 v6, v6, v8
	;; [unrolled: 1-line block ×3, first 2 shown]
	v_sub_f32_e32 v32, v4, v2
	v_sub_f32_e32 v34, v0, v4
	v_add_f32_e32 v7, v7, v9
	v_add_f32_e32 v4, v6, v13
	v_sub_f32_e32 v28, v10, v15
	v_sub_f32_e32 v29, v11, v16
	;; [unrolled: 1-line block ×5, first 2 shown]
	v_add_f32_e32 v31, v3, v5
	v_sub_f32_e32 v33, v5, v3
	v_sub_f32_e32 v35, v1, v5
	v_add_f32_e32 v5, v7, v14
	v_mul_f32_e32 v8, 0xbf08b237, v32
	v_mov_b32_e32 v32, v4
	v_sub_f32_e32 v16, v16, v9
	v_sub_f32_e32 v2, v2, v0
	;; [unrolled: 1-line block ×3, first 2 shown]
	v_mul_f32_e32 v10, 0x3d64c772, v10
	v_mul_f32_e32 v11, 0x3d64c772, v11
	;; [unrolled: 1-line block ×3, first 2 shown]
	s_mov_b32 s2, 0x3f5ff5aa
	v_fmac_f32_e32 v32, 0xbf955555, v6
	v_mov_b32_e32 v6, v5
	s_mov_b32 s3, 0x3f3bfb3b
	v_add_f32_e32 v0, v0, v30
	v_add_f32_e32 v1, v1, v31
	v_mul_f32_e32 v13, 0x3f4a47b2, v15
	v_mul_f32_e32 v14, 0x3f4a47b2, v16
	;; [unrolled: 1-line block ×4, first 2 shown]
	v_fmac_f32_e32 v6, 0xbf955555, v7
	v_fma_f32 v7, v28, s3, -v10
	v_fma_f32 v33, v29, s3, -v11
	s_mov_b32 s3, 0xbf3bfb3b
	v_fma_f32 v2, v2, s2, -v8
	v_fma_f32 v3, v3, s2, -v9
	s_mov_b32 s2, 0xbeae86e6
	v_fmac_f32_e32 v10, 0x3f4a47b2, v15
	v_fmac_f32_e32 v11, 0x3f4a47b2, v16
	v_fma_f32 v13, v28, s3, -v13
	v_fma_f32 v14, v29, s3, -v14
	v_fmac_f32_e32 v8, 0x3eae86e6, v34
	v_fmac_f32_e32 v9, 0x3eae86e6, v35
	v_fma_f32 v28, v34, s2, -v30
	v_fma_f32 v29, v35, s2, -v31
	v_add_f32_e32 v15, v10, v32
	v_add_f32_e32 v16, v11, v6
	;; [unrolled: 1-line block ×6, first 2 shown]
	v_fmac_f32_e32 v8, 0x3ee1c552, v0
	v_fmac_f32_e32 v9, 0x3ee1c552, v1
	;; [unrolled: 1-line block ×6, first 2 shown]
	v_add_f32_e32 v6, v30, v29
	v_sub_f32_e32 v7, v31, v28
	v_sub_f32_e32 v13, v10, v3
	v_add_f32_e32 v14, v2, v11
	v_add_f32_e32 v10, v10, v3
	v_sub_f32_e32 v11, v11, v2
	v_sub_f32_e32 v0, v30, v29
	v_add_f32_e32 v1, v28, v31
	v_sub_f32_e32 v2, v15, v9
	v_add_f32_e32 v3, v8, v16
	v_mul_lo_u16_e32 v28, 7, v21
	s_barrier
	s_and_saveexec_b64 s[2:3], vcc
	s_cbranch_execz .LBB0_7
; %bb.6:
	v_sub_f32_e32 v16, v16, v8
	v_add_f32_e32 v15, v15, v9
	v_add_lshl_u32 v8, v25, v28, 3
	ds_write2_b64 v8, v[4:5], v[15:16] offset1:1
	ds_write2_b64 v8, v[6:7], v[13:14] offset0:2 offset1:3
	ds_write2_b64 v8, v[10:11], v[0:1] offset0:4 offset1:5
	ds_write_b64 v8, v[2:3] offset:48
.LBB0_7:
	s_or_b64 exec, exec, s[2:3]
	s_load_dwordx4 s[0:3], s[0:1], 0x0
	s_waitcnt lgkmcnt(0)
	s_barrier
	global_load_dwordx2 v[8:9], v24, s[8:9]
	v_add_lshl_u32 v30, v25, v21, 3
	ds_read2_b64 v[31:34], v30 offset1:7
	v_lshl_add_u32 v29, v21, 3, v27
	s_waitcnt vmcnt(0) lgkmcnt(0)
	v_mul_f32_e32 v4, v34, v9
	v_mul_f32_e32 v5, v33, v9
	v_fma_f32 v4, v33, v8, -v4
	v_fmac_f32_e32 v5, v34, v8
	v_sub_f32_e32 v4, v31, v4
	v_sub_f32_e32 v5, v32, v5
	v_fma_f32 v15, v31, 2.0, -v4
	v_fma_f32 v16, v32, 2.0, -v5
	ds_write2_b64 v29, v[15:16], v[4:5] offset1:7
	s_waitcnt lgkmcnt(0)
	s_barrier
	s_and_saveexec_b64 s[4:5], vcc
	s_cbranch_execz .LBB0_9
; %bb.8:
	global_load_dwordx2 v[31:32], v24, s[12:13] offset:112
	s_add_u32 s8, s12, 0x70
	s_addc_u32 s9, s13, 0
	global_load_dwordx2 v[43:44], v24, s[8:9] offset:16
	global_load_dwordx2 v[45:46], v24, s[8:9] offset:32
	;; [unrolled: 1-line block ×6, first 2 shown]
	ds_read_b64 v[33:34], v26
	s_waitcnt vmcnt(6) lgkmcnt(0)
	v_mul_f32_e32 v35, v34, v32
	v_mul_f32_e32 v36, v33, v32
	v_fma_f32 v35, v33, v31, -v35
	v_fmac_f32_e32 v36, v34, v31
	ds_write_b64 v26, v[35:36]
	ds_read2_b64 v[31:34], v29 offset0:2 offset1:4
	ds_read2_b64 v[35:38], v29 offset0:6 offset1:8
	;; [unrolled: 1-line block ×3, first 2 shown]
	s_waitcnt vmcnt(5) lgkmcnt(2)
	v_mul_f32_e32 v56, v32, v44
	v_mul_f32_e32 v55, v31, v44
	s_waitcnt vmcnt(4)
	v_mul_f32_e32 v57, v34, v46
	v_mul_f32_e32 v44, v33, v46
	s_waitcnt vmcnt(3) lgkmcnt(1)
	v_mul_f32_e32 v58, v36, v48
	v_mul_f32_e32 v46, v35, v48
	s_waitcnt vmcnt(2)
	v_mul_f32_e32 v59, v38, v50
	v_mul_f32_e32 v48, v37, v50
	;; [unrolled: 6-line block ×3, first 2 shown]
	v_fma_f32 v54, v31, v43, -v56
	v_fmac_f32_e32 v55, v32, v43
	v_fma_f32 v43, v33, v45, -v57
	v_fmac_f32_e32 v44, v34, v45
	;; [unrolled: 2-line block ×6, first 2 shown]
	ds_write2_b64 v29, v[54:55], v[43:44] offset0:2 offset1:4
	ds_write2_b64 v29, v[45:46], v[47:48] offset0:6 offset1:8
	;; [unrolled: 1-line block ×3, first 2 shown]
.LBB0_9:
	s_or_b64 exec, exec, s[4:5]
	s_waitcnt lgkmcnt(0)
	s_barrier
	s_and_saveexec_b64 s[4:5], vcc
	s_cbranch_execz .LBB0_11
; %bb.10:
	ds_read2_b64 v[4:7], v29 offset0:2 offset1:4
	ds_read2_b64 v[31:34], v29 offset0:6 offset1:8
	ds_read_b64 v[15:16], v26
	ds_read2_b64 v[0:3], v29 offset0:10 offset1:12
	s_waitcnt lgkmcnt(2)
	v_mov_b32_e32 v11, v34
	v_mov_b32_e32 v10, v33
	;; [unrolled: 1-line block ×4, first 2 shown]
.LBB0_11:
	s_or_b64 exec, exec, s[4:5]
	s_waitcnt lgkmcnt(0)
	s_barrier
	s_and_saveexec_b64 s[4:5], vcc
	s_cbranch_execz .LBB0_13
; %bb.12:
	v_sub_f32_e32 v33, v4, v2
	v_sub_f32_e32 v31, v10, v13
	;; [unrolled: 1-line block ×5, first 2 shown]
	v_add_f32_e32 v31, v35, v31
	v_add_f32_e32 v38, v33, v31
	;; [unrolled: 1-line block ×4, first 2 shown]
	v_mul_f32_e32 v36, 0x3f08b237, v32
	v_sub_f32_e32 v32, v39, v31
	v_mul_f32_e32 v40, 0x3f4a47b2, v32
	v_add_f32_e32 v41, v7, v1
	v_sub_f32_e32 v32, v31, v41
	v_mov_b32_e32 v43, v40
	v_mul_f32_e32 v42, 0x3d64c772, v32
	v_fmac_f32_e32 v43, 0x3d64c772, v32
	v_add_f32_e32 v32, v41, v39
	v_add_f32_e32 v31, v31, v32
	;; [unrolled: 1-line block ×5, first 2 shown]
	v_sub_f32_e32 v10, v2, v4
	v_mov_b32_e32 v44, v16
	v_mul_f32_e32 v10, 0x3f4a47b2, v10
	v_add_f32_e32 v0, v6, v0
	v_fmac_f32_e32 v44, 0xbf955555, v31
	v_sub_f32_e32 v6, v4, v0
	v_mov_b32_e32 v31, v10
	v_mul_f32_e32 v13, 0x3d64c772, v6
	v_fmac_f32_e32 v31, 0x3d64c772, v6
	v_add_f32_e32 v6, v0, v2
	v_add_f32_e32 v4, v4, v6
	;; [unrolled: 1-line block ×3, first 2 shown]
	v_mov_b32_e32 v6, v15
	v_fmac_f32_e32 v6, 0xbf955555, v4
	v_sub_f32_e32 v4, v11, v14
	v_sub_f32_e32 v7, v7, v1
	;; [unrolled: 1-line block ×4, first 2 shown]
	s_mov_b32 s10, 0xbf3bfb3b
	v_sub_f32_e32 v2, v0, v2
	v_mul_f32_e32 v11, 0x3f08b237, v1
	v_add_f32_e32 v1, v7, v4
	v_sub_f32_e32 v33, v35, v33
	v_fma_f32 v0, v2, s10, -v10
	v_sub_f32_e32 v7, v7, v3
	v_mov_b32_e32 v37, v36
	v_sub_f32_e32 v5, v3, v4
	v_mov_b32_e32 v14, v11
	v_add_f32_e32 v4, v1, v3
	v_mul_f32_e32 v1, 0xbf5ff5aa, v33
	s_mov_b32 s9, 0x3eae86e6
	v_sub_f32_e32 v35, v41, v39
	v_add_f32_e32 v10, v0, v6
	v_mul_f32_e32 v0, 0xbf5ff5aa, v7
	v_fmac_f32_e32 v37, 0xbeae86e6, v34
	v_fmac_f32_e32 v14, 0xbeae86e6, v5
	s_mov_b32 s8, 0xbf5ff5aa
	v_fma_f32 v34, v34, s9, -v1
	v_fma_f32 v1, v35, s10, -v40
	v_fma_f32 v40, v5, s9, -v0
	s_mov_b32 s9, 0x3f3bfb3b
	v_fmac_f32_e32 v37, 0xbee1c552, v38
	v_add_f32_e32 v43, v43, v44
	v_add_f32_e32 v45, v31, v6
	v_fmac_f32_e32 v14, 0xbee1c552, v4
	v_fmac_f32_e32 v40, 0xbee1c552, v4
	v_fma_f32 v3, v35, s9, -v42
	v_fma_f32 v33, v33, s8, -v36
	;; [unrolled: 1-line block ×4, first 2 shown]
	v_fmac_f32_e32 v34, 0xbee1c552, v38
	v_add_f32_e32 v39, v1, v44
	v_sub_f32_e32 v0, v10, v40
	v_add_f32_e32 v5, v3, v44
	v_fmac_f32_e32 v33, 0xbee1c552, v38
	v_fmac_f32_e32 v7, 0xbee1c552, v4
	v_add_f32_e32 v4, v2, v6
	v_add_f32_e32 v6, v40, v10
	v_sub_f32_e32 v11, v43, v37
	v_add_f32_e32 v10, v45, v14
	v_lshl_add_u32 v13, v28, 3, v27
	v_add_f32_e32 v32, v37, v43
	v_sub_f32_e32 v31, v45, v14
	v_add_f32_e32 v1, v34, v39
	v_sub_f32_e32 v3, v5, v33
	v_add_f32_e32 v2, v7, v4
	v_add_f32_e32 v5, v33, v5
	v_sub_f32_e32 v4, v4, v7
	v_sub_f32_e32 v7, v39, v34
	ds_write2_b64 v13, v[15:16], v[10:11] offset1:1
	ds_write2_b64 v13, v[6:7], v[4:5] offset0:2 offset1:3
	ds_write2_b64 v13, v[2:3], v[0:1] offset0:4 offset1:5
	ds_write_b64 v13, v[31:32] offset:48
.LBB0_13:
	s_or_b64 exec, exec, s[4:5]
	s_waitcnt lgkmcnt(0)
	s_barrier
	ds_read2_b64 v[0:3], v30 offset1:7
	s_waitcnt lgkmcnt(0)
	v_mul_f32_e32 v4, v9, v3
	v_mul_f32_e32 v5, v9, v2
	v_fmac_f32_e32 v4, v8, v2
	v_fma_f32 v3, v8, v3, -v5
	v_sub_f32_e32 v2, v0, v4
	v_sub_f32_e32 v3, v1, v3
	v_fma_f32 v0, v0, 2.0, -v2
	v_fma_f32 v1, v1, 2.0, -v3
	ds_write2_b64 v29, v[0:1], v[2:3] offset1:7
	s_waitcnt lgkmcnt(0)
	s_barrier
	s_and_b64 exec, exec, vcc
	s_cbranch_execz .LBB0_15
; %bb.14:
	global_load_dwordx2 v[8:9], v24, s[12:13]
	global_load_dwordx2 v[10:11], v24, s[12:13] offset:16
	global_load_dwordx2 v[13:14], v24, s[12:13] offset:32
	;; [unrolled: 1-line block ×3, first 2 shown]
	ds_read_b64 v[29:30], v26
	global_load_dwordx2 v[35:36], v24, s[12:13] offset:64
	global_load_dwordx2 v[37:38], v24, s[12:13] offset:80
	global_load_dwordx2 v[39:40], v24, s[12:13] offset:96
	v_mad_u64_u32 v[27:28], s[4:5], s2, v12, 0
	v_mad_u64_u32 v[31:32], s[8:9], s0, v21, 0
	v_lshl_add_u32 v45, v25, 3, v24
	v_mad_u64_u32 v[25:26], s[8:9], s0, v22, 0
	v_mad_u64_u32 v[33:34], s[8:9], s0, v23, 0
	v_mov_b32_e32 v24, v28
	v_mov_b32_e32 v28, v32
	v_mad_u64_u32 v[41:42], s[2:3], s3, v12, v[24:25]
	v_mov_b32_e32 v32, v34
	s_waitcnt lgkmcnt(0)
	v_mad_u64_u32 v[42:43], s[2:3], s1, v21, v[28:29]
	v_mad_u64_u32 v[21:22], s[2:3], s1, v22, v[26:27]
	;; [unrolled: 1-line block ×3, first 2 shown]
	v_mov_b32_e32 v28, v41
	v_mov_b32_e32 v26, v21
	;; [unrolled: 1-line block ×3, first 2 shown]
	v_lshlrev_b64 v[21:22], 3, v[27:28]
	v_mov_b32_e32 v32, v42
	v_mov_b32_e32 v44, s7
	v_lshlrev_b64 v[23:24], 3, v[31:32]
	v_add_co_u32_e32 v31, vcc, s6, v21
	v_addc_co_u32_e32 v32, vcc, v44, v22, vcc
	v_lshlrev_b64 v[25:26], 3, v[25:26]
	v_add_co_u32_e32 v21, vcc, v31, v23
	ds_read2_b64 v[0:3], v45 offset0:2 offset1:4
	ds_read2_b64 v[4:7], v45 offset0:6 offset1:8
	v_addc_co_u32_e32 v22, vcc, v32, v24, vcc
	v_lshlrev_b64 v[27:28], 3, v[33:34]
	v_add_co_u32_e32 v23, vcc, v31, v25
	v_addc_co_u32_e32 v24, vcc, v32, v26, vcc
	v_add_co_u32_e32 v25, vcc, v31, v27
	v_addc_co_u32_e32 v26, vcc, v32, v28, vcc
	s_mov_b32 s4, 0x92492492
	s_mov_b32 s5, 0x3fb24924
	s_waitcnt vmcnt(6)
	v_mul_f32_e32 v12, v30, v9
	v_mul_f32_e32 v9, v29, v9
	s_waitcnt vmcnt(5) lgkmcnt(1)
	v_mul_f32_e32 v27, v1, v11
	v_mul_f32_e32 v11, v0, v11
	s_waitcnt vmcnt(4)
	v_mul_f32_e32 v28, v3, v14
	v_mul_f32_e32 v14, v2, v14
	v_fmac_f32_e32 v12, v29, v8
	v_fma_f32 v8, v8, v30, -v9
	s_waitcnt vmcnt(3) lgkmcnt(0)
	v_mul_f32_e32 v33, v5, v16
	v_mul_f32_e32 v16, v4, v16
	v_fmac_f32_e32 v27, v0, v10
	v_fma_f32 v9, v10, v1, -v11
	v_fmac_f32_e32 v28, v2, v13
	v_fma_f32 v13, v13, v3, -v14
	v_cvt_f64_f32_e32 v[0:1], v12
	v_cvt_f64_f32_e32 v[2:3], v8
	v_fmac_f32_e32 v33, v4, v15
	v_fma_f32 v16, v15, v5, -v16
	v_cvt_f64_f32_e32 v[4:5], v27
	v_cvt_f64_f32_e32 v[8:9], v9
	;; [unrolled: 1-line block ×5, first 2 shown]
	v_mul_f64 v[0:1], v[0:1], s[4:5]
	v_mul_f64 v[2:3], v[2:3], s[4:5]
	;; [unrolled: 1-line block ×7, first 2 shown]
	v_cvt_f64_f32_e32 v[27:28], v16
	v_cvt_f32_f64_e32 v0, v[0:1]
	v_cvt_f32_f64_e32 v1, v[2:3]
	;; [unrolled: 1-line block ×6, first 2 shown]
	global_store_dwordx2 v[21:22], v[0:1], off
	global_store_dwordx2 v[23:24], v[2:3], off
	v_mad_u64_u32 v[0:1], s[2:3], s0, v20, 0
	v_cvt_f32_f64_e32 v2, v[14:15]
	global_store_dwordx2 v[25:26], v[4:5], off
	v_mul_f64 v[27:28], v[27:28], s[4:5]
	v_mad_u64_u32 v[4:5], s[2:3], s1, v20, v[1:2]
	s_waitcnt vmcnt(5)
	v_mul_f32_e32 v1, v7, v36
	v_fmac_f32_e32 v1, v6, v35
	v_cvt_f64_f32_e32 v[8:9], v1
	v_mul_f32_e32 v1, v6, v36
	v_fma_f32 v1, v35, v7, -v1
	v_cvt_f64_f32_e32 v[5:6], v1
	v_mov_b32_e32 v1, v4
	v_mul_f64 v[7:8], v[8:9], s[4:5]
	v_cvt_f32_f64_e32 v3, v[27:28]
	v_mul_f64 v[4:5], v[5:6], s[4:5]
	v_lshlrev_b64 v[0:1], 3, v[0:1]
	v_mad_u64_u32 v[9:10], s[2:3], s0, v19, 0
	v_add_co_u32_e32 v0, vcc, v31, v0
	v_addc_co_u32_e32 v1, vcc, v32, v1, vcc
	global_store_dwordx2 v[0:1], v[2:3], off
	ds_read2_b64 v[0:3], v45 offset0:10 offset1:12
	v_cvt_f32_f64_e32 v6, v[7:8]
	v_cvt_f32_f64_e32 v7, v[4:5]
	v_mov_b32_e32 v4, v10
	v_mad_u64_u32 v[4:5], s[2:3], s1, v19, v[4:5]
	s_waitcnt vmcnt(5) lgkmcnt(0)
	v_mul_f32_e32 v5, v1, v38
	v_fmac_f32_e32 v5, v0, v37
	v_mul_f32_e32 v0, v0, v38
	v_fma_f32 v0, v37, v1, -v0
	v_cvt_f64_f32_e32 v[0:1], v0
	v_cvt_f64_f32_e32 v[11:12], v5
	v_mov_b32_e32 v10, v4
	v_lshlrev_b64 v[4:5], 3, v[9:10]
	v_mul_f64 v[0:1], v[0:1], s[4:5]
	v_mul_f64 v[8:9], v[11:12], s[4:5]
	v_mad_u64_u32 v[10:11], s[2:3], s0, v18, 0
	v_add_co_u32_e32 v4, vcc, v31, v4
	v_addc_co_u32_e32 v5, vcc, v32, v5, vcc
	global_store_dwordx2 v[4:5], v[6:7], off
	v_cvt_f32_f64_e32 v5, v[0:1]
	v_mov_b32_e32 v0, v11
	v_mad_u64_u32 v[0:1], s[2:3], s1, v18, v[0:1]
	s_waitcnt vmcnt(5)
	v_mul_f32_e32 v1, v3, v40
	v_fmac_f32_e32 v1, v2, v39
	v_cvt_f64_f32_e32 v[6:7], v1
	v_mul_f32_e32 v1, v2, v40
	v_fma_f32 v1, v39, v3, -v1
	v_cvt_f64_f32_e32 v[1:2], v1
	v_cvt_f32_f64_e32 v4, v[8:9]
	v_mov_b32_e32 v11, v0
	v_mul_f64 v[6:7], v[6:7], s[4:5]
	v_mul_f64 v[0:1], v[1:2], s[4:5]
	v_mad_u64_u32 v[2:3], s[2:3], s0, v17, 0
	v_lshlrev_b64 v[8:9], 3, v[10:11]
	v_mad_u64_u32 v[10:11], s[0:1], s1, v17, v[3:4]
	v_add_co_u32_e32 v8, vcc, v31, v8
	v_addc_co_u32_e32 v9, vcc, v32, v9, vcc
	v_mov_b32_e32 v3, v10
	global_store_dwordx2 v[8:9], v[4:5], off
	v_cvt_f32_f64_e32 v4, v[6:7]
	v_cvt_f32_f64_e32 v5, v[0:1]
	v_lshlrev_b64 v[0:1], 3, v[2:3]
	v_add_co_u32_e32 v0, vcc, v31, v0
	v_addc_co_u32_e32 v1, vcc, v32, v1, vcc
	global_store_dwordx2 v[0:1], v[4:5], off
.LBB0_15:
	s_endpgm
	.section	.rodata,"a",@progbits
	.p2align	6, 0x0
	.amdhsa_kernel bluestein_single_back_len14_dim1_sp_op_CI_CI
		.amdhsa_group_segment_fixed_size 2016
		.amdhsa_private_segment_fixed_size 0
		.amdhsa_kernarg_size 104
		.amdhsa_user_sgpr_count 6
		.amdhsa_user_sgpr_private_segment_buffer 1
		.amdhsa_user_sgpr_dispatch_ptr 0
		.amdhsa_user_sgpr_queue_ptr 0
		.amdhsa_user_sgpr_kernarg_segment_ptr 1
		.amdhsa_user_sgpr_dispatch_id 0
		.amdhsa_user_sgpr_flat_scratch_init 0
		.amdhsa_user_sgpr_private_segment_size 0
		.amdhsa_uses_dynamic_stack 0
		.amdhsa_system_sgpr_private_segment_wavefront_offset 0
		.amdhsa_system_sgpr_workgroup_id_x 1
		.amdhsa_system_sgpr_workgroup_id_y 0
		.amdhsa_system_sgpr_workgroup_id_z 0
		.amdhsa_system_sgpr_workgroup_info 0
		.amdhsa_system_vgpr_workitem_id 0
		.amdhsa_next_free_vgpr 62
		.amdhsa_next_free_sgpr 16
		.amdhsa_reserve_vcc 1
		.amdhsa_reserve_flat_scratch 0
		.amdhsa_float_round_mode_32 0
		.amdhsa_float_round_mode_16_64 0
		.amdhsa_float_denorm_mode_32 3
		.amdhsa_float_denorm_mode_16_64 3
		.amdhsa_dx10_clamp 1
		.amdhsa_ieee_mode 1
		.amdhsa_fp16_overflow 0
		.amdhsa_exception_fp_ieee_invalid_op 0
		.amdhsa_exception_fp_denorm_src 0
		.amdhsa_exception_fp_ieee_div_zero 0
		.amdhsa_exception_fp_ieee_overflow 0
		.amdhsa_exception_fp_ieee_underflow 0
		.amdhsa_exception_fp_ieee_inexact 0
		.amdhsa_exception_int_div_zero 0
	.end_amdhsa_kernel
	.text
.Lfunc_end0:
	.size	bluestein_single_back_len14_dim1_sp_op_CI_CI, .Lfunc_end0-bluestein_single_back_len14_dim1_sp_op_CI_CI
                                        ; -- End function
	.section	.AMDGPU.csdata,"",@progbits
; Kernel info:
; codeLenInByte = 3536
; NumSgprs: 20
; NumVgprs: 62
; ScratchSize: 0
; MemoryBound: 0
; FloatMode: 240
; IeeeMode: 1
; LDSByteSize: 2016 bytes/workgroup (compile time only)
; SGPRBlocks: 2
; VGPRBlocks: 15
; NumSGPRsForWavesPerEU: 20
; NumVGPRsForWavesPerEU: 62
; Occupancy: 4
; WaveLimiterHint : 1
; COMPUTE_PGM_RSRC2:SCRATCH_EN: 0
; COMPUTE_PGM_RSRC2:USER_SGPR: 6
; COMPUTE_PGM_RSRC2:TRAP_HANDLER: 0
; COMPUTE_PGM_RSRC2:TGID_X_EN: 1
; COMPUTE_PGM_RSRC2:TGID_Y_EN: 0
; COMPUTE_PGM_RSRC2:TGID_Z_EN: 0
; COMPUTE_PGM_RSRC2:TIDIG_COMP_CNT: 0
	.type	__hip_cuid_182bcfdbc6c7809e,@object ; @__hip_cuid_182bcfdbc6c7809e
	.section	.bss,"aw",@nobits
	.globl	__hip_cuid_182bcfdbc6c7809e
__hip_cuid_182bcfdbc6c7809e:
	.byte	0                               ; 0x0
	.size	__hip_cuid_182bcfdbc6c7809e, 1

	.ident	"AMD clang version 19.0.0git (https://github.com/RadeonOpenCompute/llvm-project roc-6.4.0 25133 c7fe45cf4b819c5991fe208aaa96edf142730f1d)"
	.section	".note.GNU-stack","",@progbits
	.addrsig
	.addrsig_sym __hip_cuid_182bcfdbc6c7809e
	.amdgpu_metadata
---
amdhsa.kernels:
  - .args:
      - .actual_access:  read_only
        .address_space:  global
        .offset:         0
        .size:           8
        .value_kind:     global_buffer
      - .actual_access:  read_only
        .address_space:  global
        .offset:         8
        .size:           8
        .value_kind:     global_buffer
      - .actual_access:  read_only
        .address_space:  global
        .offset:         16
        .size:           8
        .value_kind:     global_buffer
      - .actual_access:  read_only
        .address_space:  global
        .offset:         24
        .size:           8
        .value_kind:     global_buffer
      - .actual_access:  read_only
        .address_space:  global
        .offset:         32
        .size:           8
        .value_kind:     global_buffer
      - .offset:         40
        .size:           8
        .value_kind:     by_value
      - .address_space:  global
        .offset:         48
        .size:           8
        .value_kind:     global_buffer
      - .address_space:  global
        .offset:         56
        .size:           8
        .value_kind:     global_buffer
      - .address_space:  global
        .offset:         64
        .size:           8
        .value_kind:     global_buffer
      - .address_space:  global
        .offset:         72
        .size:           8
        .value_kind:     global_buffer
      - .offset:         80
        .size:           4
        .value_kind:     by_value
      - .address_space:  global
        .offset:         88
        .size:           8
        .value_kind:     global_buffer
      - .address_space:  global
        .offset:         96
        .size:           8
        .value_kind:     global_buffer
    .group_segment_fixed_size: 2016
    .kernarg_segment_align: 8
    .kernarg_segment_size: 104
    .language:       OpenCL C
    .language_version:
      - 2
      - 0
    .max_flat_workgroup_size: 126
    .name:           bluestein_single_back_len14_dim1_sp_op_CI_CI
    .private_segment_fixed_size: 0
    .sgpr_count:     20
    .sgpr_spill_count: 0
    .symbol:         bluestein_single_back_len14_dim1_sp_op_CI_CI.kd
    .uniform_work_group_size: 1
    .uses_dynamic_stack: false
    .vgpr_count:     62
    .vgpr_spill_count: 0
    .wavefront_size: 64
amdhsa.target:   amdgcn-amd-amdhsa--gfx906
amdhsa.version:
  - 1
  - 2
...

	.end_amdgpu_metadata
